;; amdgpu-corpus repo=ROCm/rocFFT kind=compiled arch=gfx950 opt=O3
	.text
	.amdgcn_target "amdgcn-amd-amdhsa--gfx950"
	.amdhsa_code_object_version 6
	.protected	fft_rtc_back_len384_factors_6_4_4_4_wgs_128_tpt_32_halfLds_dp_op_CI_CI_unitstride_sbrr_dirReg ; -- Begin function fft_rtc_back_len384_factors_6_4_4_4_wgs_128_tpt_32_halfLds_dp_op_CI_CI_unitstride_sbrr_dirReg
	.globl	fft_rtc_back_len384_factors_6_4_4_4_wgs_128_tpt_32_halfLds_dp_op_CI_CI_unitstride_sbrr_dirReg
	.p2align	8
	.type	fft_rtc_back_len384_factors_6_4_4_4_wgs_128_tpt_32_halfLds_dp_op_CI_CI_unitstride_sbrr_dirReg,@function
fft_rtc_back_len384_factors_6_4_4_4_wgs_128_tpt_32_halfLds_dp_op_CI_CI_unitstride_sbrr_dirReg: ; @fft_rtc_back_len384_factors_6_4_4_4_wgs_128_tpt_32_halfLds_dp_op_CI_CI_unitstride_sbrr_dirReg
; %bb.0:
	s_load_dwordx4 s[4:7], s[0:1], 0x58
	s_load_dwordx4 s[8:11], s[0:1], 0x0
	;; [unrolled: 1-line block ×3, first 2 shown]
	v_lshrrev_b32_e32 v1, 5, v0
	v_lshl_or_b32 v6, s2, 2, v1
	v_mov_b32_e32 v4, 0
	s_waitcnt lgkmcnt(0)
	v_cmp_lt_u64_e64 s[2:3], s[10:11], 2
	v_mov_b32_e32 v7, v4
	s_and_b64 vcc, exec, s[2:3]
	v_mov_b64_e32 v[2:3], 0
	s_cbranch_vccnz .LBB0_8
; %bb.1:
	s_load_dwordx2 s[2:3], s[0:1], 0x10
	s_add_u32 s16, s14, 8
	s_addc_u32 s17, s15, 0
	s_add_u32 s18, s12, 8
	s_addc_u32 s19, s13, 0
	s_waitcnt lgkmcnt(0)
	s_add_u32 s20, s2, 8
	v_mov_b64_e32 v[2:3], 0
	s_addc_u32 s21, s3, 0
	s_mov_b64 s[22:23], 1
	v_mov_b64_e32 v[50:51], v[2:3]
.LBB0_2:                                ; =>This Inner Loop Header: Depth=1
	s_load_dwordx2 s[24:25], s[20:21], 0x0
                                        ; implicit-def: $vgpr52_vgpr53
	s_waitcnt lgkmcnt(0)
	v_or_b32_e32 v5, s25, v7
	v_cmp_ne_u64_e32 vcc, 0, v[4:5]
	s_and_saveexec_b64 s[2:3], vcc
	s_xor_b64 s[26:27], exec, s[2:3]
	s_cbranch_execz .LBB0_4
; %bb.3:                                ;   in Loop: Header=BB0_2 Depth=1
	v_cvt_f32_u32_e32 v5, s24
	v_cvt_f32_u32_e32 v8, s25
	s_sub_u32 s2, 0, s24
	s_subb_u32 s3, 0, s25
	v_fmac_f32_e32 v5, 0x4f800000, v8
	v_rcp_f32_e32 v5, v5
	s_nop 0
	v_mul_f32_e32 v5, 0x5f7ffffc, v5
	v_mul_f32_e32 v8, 0x2f800000, v5
	v_trunc_f32_e32 v8, v8
	v_fmac_f32_e32 v5, 0xcf800000, v8
	v_cvt_u32_f32_e32 v12, v8
	v_cvt_u32_f32_e32 v5, v5
	v_mul_lo_u32 v8, s2, v12
	v_mul_hi_u32 v10, s2, v5
	v_mul_lo_u32 v9, s3, v5
	v_add_u32_e32 v10, v10, v8
	v_mul_lo_u32 v13, s2, v5
	v_add_u32_e32 v14, v10, v9
	v_mul_hi_u32 v8, v5, v13
	v_mul_hi_u32 v11, v5, v14
	v_mul_lo_u32 v10, v5, v14
	v_mov_b32_e32 v9, v4
	v_lshl_add_u64 v[8:9], v[8:9], 0, v[10:11]
	v_mul_hi_u32 v11, v12, v13
	v_mul_lo_u32 v13, v12, v13
	v_add_co_u32_e32 v8, vcc, v8, v13
	v_mul_hi_u32 v10, v12, v14
	s_nop 0
	v_addc_co_u32_e32 v8, vcc, v9, v11, vcc
	v_mov_b32_e32 v9, v4
	s_nop 0
	v_addc_co_u32_e32 v11, vcc, 0, v10, vcc
	v_mul_lo_u32 v10, v12, v14
	v_lshl_add_u64 v[8:9], v[8:9], 0, v[10:11]
	v_add_co_u32_e32 v5, vcc, v5, v8
	v_mul_lo_u32 v10, s2, v5
	s_nop 0
	v_addc_co_u32_e32 v12, vcc, v12, v9, vcc
	v_mul_lo_u32 v8, s2, v12
	v_mul_hi_u32 v9, s2, v5
	v_add_u32_e32 v8, v9, v8
	v_mul_lo_u32 v9, s3, v5
	v_add_u32_e32 v13, v8, v9
	v_mul_hi_u32 v15, v12, v10
	v_mul_lo_u32 v16, v12, v10
	v_mul_hi_u32 v9, v5, v13
	v_mul_lo_u32 v8, v5, v13
	v_mul_hi_u32 v10, v5, v10
	v_mov_b32_e32 v11, v4
	v_lshl_add_u64 v[8:9], v[10:11], 0, v[8:9]
	v_add_co_u32_e32 v8, vcc, v8, v16
	v_mul_hi_u32 v14, v12, v13
	s_nop 0
	v_addc_co_u32_e32 v8, vcc, v9, v15, vcc
	v_mul_lo_u32 v10, v12, v13
	s_nop 0
	v_addc_co_u32_e32 v11, vcc, 0, v14, vcc
	v_mov_b32_e32 v9, v4
	v_lshl_add_u64 v[8:9], v[8:9], 0, v[10:11]
	v_add_co_u32_e32 v5, vcc, v5, v8
	v_mul_hi_u32 v10, v6, v5
	s_nop 0
	v_addc_co_u32_e32 v12, vcc, v12, v9, vcc
	v_mad_u64_u32 v[8:9], s[2:3], v6, v12, 0
	v_mov_b32_e32 v11, v4
	v_lshl_add_u64 v[8:9], v[10:11], 0, v[8:9]
	v_mad_u64_u32 v[10:11], s[2:3], v7, v12, 0
	v_mad_u64_u32 v[12:13], s[2:3], v7, v5, 0
	v_add_co_u32_e32 v5, vcc, v8, v12
	s_nop 1
	v_addc_co_u32_e32 v8, vcc, v9, v13, vcc
	v_mov_b32_e32 v9, v4
	s_nop 0
	v_addc_co_u32_e32 v11, vcc, 0, v11, vcc
	v_lshl_add_u64 v[8:9], v[8:9], 0, v[10:11]
	v_mul_lo_u32 v5, s25, v8
	v_mul_lo_u32 v12, s24, v9
	v_mad_u64_u32 v[10:11], s[2:3], s24, v8, 0
	v_add3_u32 v5, v11, v12, v5
	v_sub_u32_e32 v11, v7, v5
	v_mov_b32_e32 v12, s25
	v_sub_co_u32_e32 v14, vcc, v6, v10
	s_nop 1
	v_subb_co_u32_e64 v10, s[2:3], v11, v12, vcc
	v_subrev_co_u32_e64 v11, s[2:3], s24, v14
	v_subb_co_u32_e32 v5, vcc, v7, v5, vcc
	s_nop 0
	v_subbrev_co_u32_e64 v10, s[2:3], 0, v10, s[2:3]
	v_cmp_le_u32_e64 s[2:3], s25, v10
	v_cmp_le_u32_e32 vcc, s25, v5
	s_nop 0
	v_cndmask_b32_e64 v12, 0, -1, s[2:3]
	v_cmp_le_u32_e64 s[2:3], s24, v11
	s_nop 1
	v_cndmask_b32_e64 v11, 0, -1, s[2:3]
	v_cmp_eq_u32_e64 s[2:3], s25, v10
	s_nop 1
	v_cndmask_b32_e64 v15, v12, v11, s[2:3]
	v_lshl_add_u64 v[10:11], v[8:9], 0, 2
	v_lshl_add_u64 v[12:13], v[8:9], 0, 1
	v_cmp_ne_u32_e64 s[2:3], 0, v15
	s_nop 1
	v_cndmask_b32_e64 v11, v13, v11, s[2:3]
	v_cndmask_b32_e64 v13, 0, -1, vcc
	v_cmp_le_u32_e32 vcc, s24, v14
	s_nop 1
	v_cndmask_b32_e64 v14, 0, -1, vcc
	v_cmp_eq_u32_e32 vcc, s25, v5
	s_nop 1
	v_cndmask_b32_e32 v5, v13, v14, vcc
	v_cmp_ne_u32_e32 vcc, 0, v5
	v_cndmask_b32_e64 v5, v12, v10, s[2:3]
	s_nop 0
	v_cndmask_b32_e32 v53, v9, v11, vcc
	v_cndmask_b32_e32 v52, v8, v5, vcc
.LBB0_4:                                ;   in Loop: Header=BB0_2 Depth=1
	s_andn2_saveexec_b64 s[2:3], s[26:27]
	s_cbranch_execz .LBB0_6
; %bb.5:                                ;   in Loop: Header=BB0_2 Depth=1
	v_cvt_f32_u32_e32 v5, s24
	s_sub_i32 s26, 0, s24
	v_mov_b32_e32 v53, v4
	v_rcp_iflag_f32_e32 v5, v5
	s_nop 0
	v_mul_f32_e32 v5, 0x4f7ffffe, v5
	v_cvt_u32_f32_e32 v5, v5
	v_mul_lo_u32 v8, s26, v5
	v_mul_hi_u32 v8, v5, v8
	v_add_u32_e32 v5, v5, v8
	v_mul_hi_u32 v5, v6, v5
	v_mul_lo_u32 v8, v5, s24
	v_sub_u32_e32 v8, v6, v8
	v_add_u32_e32 v9, 1, v5
	v_subrev_u32_e32 v10, s24, v8
	v_cmp_le_u32_e32 vcc, s24, v8
	s_nop 1
	v_cndmask_b32_e32 v8, v8, v10, vcc
	v_cndmask_b32_e32 v5, v5, v9, vcc
	v_add_u32_e32 v9, 1, v5
	v_cmp_le_u32_e32 vcc, s24, v8
	s_nop 1
	v_cndmask_b32_e32 v52, v5, v9, vcc
.LBB0_6:                                ;   in Loop: Header=BB0_2 Depth=1
	s_or_b64 exec, exec, s[2:3]
	v_mad_u64_u32 v[8:9], s[2:3], v52, s24, 0
	s_load_dwordx2 s[2:3], s[18:19], 0x0
	v_mul_lo_u32 v5, v53, s24
	v_mul_lo_u32 v10, v52, s25
	s_load_dwordx2 s[24:25], s[16:17], 0x0
	s_add_u32 s22, s22, 1
	v_add3_u32 v5, v9, v10, v5
	v_sub_co_u32_e32 v6, vcc, v6, v8
	s_addc_u32 s23, s23, 0
	s_nop 0
	v_subb_co_u32_e32 v5, vcc, v7, v5, vcc
	s_add_u32 s16, s16, 8
	s_waitcnt lgkmcnt(0)
	v_mul_lo_u32 v7, s2, v5
	v_mul_lo_u32 v8, s3, v6
	v_mad_u64_u32 v[2:3], s[2:3], s2, v6, v[2:3]
	s_addc_u32 s17, s17, 0
	v_add3_u32 v3, v8, v3, v7
	v_mul_lo_u32 v5, s24, v5
	v_mul_lo_u32 v7, s25, v6
	v_mad_u64_u32 v[50:51], s[2:3], s24, v6, v[50:51]
	s_add_u32 s18, s18, 8
	v_add3_u32 v51, v7, v51, v5
	s_addc_u32 s19, s19, 0
	v_mov_b64_e32 v[6:7], s[10:11]
	s_add_u32 s20, s20, 8
	v_cmp_ge_u64_e32 vcc, s[22:23], v[6:7]
	s_addc_u32 s21, s21, 0
	s_cbranch_vccnz .LBB0_9
; %bb.7:                                ;   in Loop: Header=BB0_2 Depth=1
	v_mov_b64_e32 v[6:7], v[52:53]
	s_branch .LBB0_2
.LBB0_8:
	v_mov_b64_e32 v[50:51], v[2:3]
	v_mov_b64_e32 v[52:53], v[6:7]
.LBB0_9:
	s_load_dwordx2 s[0:1], s[0:1], 0x28
	s_lshl_b64 s[10:11], s[10:11], 3
	s_add_u32 s2, s14, s10
	s_addc_u32 s3, s15, s11
	v_and_b32_e32 v54, 31, v0
	s_waitcnt lgkmcnt(0)
	v_cmp_gt_u64_e32 vcc, s[0:1], v[52:53]
	v_cmp_le_u64_e64 s[0:1], s[0:1], v[52:53]
                                        ; implicit-def: $vgpr55
                                        ; implicit-def: $vgpr56
	s_and_saveexec_b64 s[14:15], s[0:1]
	s_xor_b64 s[0:1], exec, s[14:15]
; %bb.10:
	v_and_b32_e32 v54, 31, v0
	v_or_b32_e32 v55, 32, v54
	v_or_b32_e32 v56, 64, v54
                                        ; implicit-def: $vgpr2_vgpr3
                                        ; implicit-def: $vgpr0
; %bb.11:
	s_or_saveexec_b64 s[0:1], s[0:1]
                                        ; implicit-def: $vgpr24_vgpr25
                                        ; implicit-def: $vgpr44_vgpr45
                                        ; implicit-def: $vgpr32_vgpr33
                                        ; implicit-def: $vgpr4_vgpr5
                                        ; implicit-def: $vgpr16_vgpr17
                                        ; implicit-def: $vgpr36_vgpr37
                                        ; implicit-def: $vgpr28_vgpr29
                                        ; implicit-def: $vgpr20_vgpr21
                                        ; implicit-def: $vgpr8_vgpr9
                                        ; implicit-def: $vgpr40_vgpr41
                                        ; implicit-def: $vgpr48_vgpr49
                                        ; implicit-def: $vgpr12_vgpr13
	s_xor_b64 exec, exec, s[0:1]
	s_cbranch_execz .LBB0_13
; %bb.12:
	s_add_u32 s10, s12, s10
	s_addc_u32 s11, s13, s11
	s_load_dwordx2 s[10:11], s[10:11], 0x0
	v_lshlrev_b32_e32 v26, 4, v54
	v_mov_b32_e32 v27, 0
	v_or_b32_e32 v55, 32, v54
	s_waitcnt lgkmcnt(0)
	v_mul_lo_u32 v6, s11, v52
	v_mul_lo_u32 v7, s10, v53
	v_mad_u64_u32 v[4:5], s[10:11], s10, v52, 0
	v_add3_u32 v5, v5, v7, v6
	v_lshl_add_u64 v[4:5], v[4:5], 4, s[4:5]
	v_lshl_add_u64 v[28:29], v[2:3], 4, v[4:5]
	v_or_b32_e32 v2, 0x1000, v26
	v_mov_b32_e32 v3, v27
	v_lshl_add_u64 v[36:37], v[28:29], 0, v[2:3]
	v_or_b32_e32 v2, 0x1400, v26
	v_lshl_add_u64 v[34:35], v[28:29], 0, v[26:27]
	v_lshl_add_u64 v[56:57], v[28:29], 0, v[2:3]
	global_load_dwordx4 v[38:41], v[36:37], off
	global_load_dwordx4 v[30:33], v[56:57], off
	;; [unrolled: 1-line block ×3, first 2 shown]
	global_load_dwordx4 v[2:5], v[34:35], off offset:512
	global_load_dwordx4 v[22:25], v[34:35], off offset:1024
	;; [unrolled: 1-line block ×7, first 2 shown]
	v_or_b32_e32 v26, 0x1200, v26
	v_lshl_add_u64 v[56:57], v[28:29], 0, v[26:27]
	v_mov_b32_e32 v26, 0x1600
	v_lshl_or_b32 v26, v0, 4, v26
	v_lshl_add_u64 v[58:59], v[28:29], 0, v[26:27]
	global_load_dwordx4 v[34:37], v[56:57], off
	global_load_dwordx4 v[26:29], v[58:59], off
	v_or_b32_e32 v56, 64, v54
.LBB0_13:
	s_or_b64 exec, exec, s[0:1]
	s_waitcnt vmcnt(5)
	v_add_f64 v[58:59], v[42:43], v[38:39]
	s_mov_b32 s4, 0xe8584caa
	v_mul_u32_u24_e32 v57, 0x180, v1
	v_add_f64 v[0:1], v[42:43], v[10:11]
	v_fmac_f64_e32 v[10:11], -0.5, v[58:59]
	v_add_f64 v[58:59], v[44:45], -v[40:41]
	s_mov_b32 s5, 0xbfebb67a
	s_mov_b32 s1, 0x3febb67a
	;; [unrolled: 1-line block ×3, first 2 shown]
	v_fma_f64 v[60:61], s[4:5], v[58:59], v[10:11]
	v_fmac_f64_e32 v[10:11], s[0:1], v[58:59]
	v_add_f64 v[58:59], v[44:45], v[12:13]
	v_add_f64 v[58:59], v[40:41], v[58:59]
	;; [unrolled: 1-line block ×4, first 2 shown]
	v_fmac_f64_e32 v[12:13], -0.5, v[40:41]
	v_add_f64 v[38:39], v[42:43], -v[38:39]
	s_waitcnt vmcnt(3)
	v_add_f64 v[40:41], v[30:31], v[46:47]
	v_fma_f64 v[62:63], s[0:1], v[38:39], v[12:13]
	v_fmac_f64_e32 v[12:13], s[4:5], v[38:39]
	v_add_f64 v[38:39], v[22:23], v[46:47]
	v_fmac_f64_e32 v[22:23], -0.5, v[40:41]
	v_add_f64 v[40:41], v[48:49], -v[32:33]
	v_fma_f64 v[42:43], s[4:5], v[40:41], v[22:23]
	v_fmac_f64_e32 v[22:23], s[0:1], v[40:41]
	v_add_f64 v[40:41], v[24:25], v[48:49]
	v_add_f64 v[44:45], v[32:33], v[40:41]
	;; [unrolled: 1-line block ×4, first 2 shown]
	v_fmac_f64_e32 v[24:25], -0.5, v[32:33]
	v_add_f64 v[30:31], v[46:47], -v[30:31]
	v_fma_f64 v[40:41], s[0:1], v[30:31], v[24:25]
	v_fmac_f64_e32 v[24:25], s[4:5], v[30:31]
	v_mul_f64 v[48:49], v[24:25], s[4:5]
	v_fmac_f64_e32 v[48:49], -0.5, v[22:23]
	v_mul_f64 v[66:67], v[24:25], -0.5
	v_mul_f64 v[46:47], v[40:41], s[4:5]
	v_fmac_f64_e32 v[66:67], s[0:1], v[22:23]
	v_add_f64 v[22:23], v[10:11], v[48:49]
	v_add_f64 v[48:49], v[10:11], -v[48:49]
	s_waitcnt vmcnt(1)
	v_add_f64 v[10:11], v[34:35], v[18:19]
	v_add_f64 v[30:31], v[38:39], v[0:1]
	v_fmac_f64_e32 v[46:47], 0.5, v[42:43]
	v_add_f64 v[24:25], v[0:1], -v[38:39]
	v_add_f64 v[0:1], v[2:3], v[18:19]
	v_fmac_f64_e32 v[2:3], -0.5, v[10:11]
	v_add_f64 v[10:11], v[20:21], -v[36:37]
	v_add_f64 v[32:33], v[60:61], v[46:47]
	v_mul_f64 v[64:65], v[42:43], s[0:1]
	v_add_f64 v[42:43], v[12:13], v[66:67]
	v_add_f64 v[46:47], v[60:61], -v[46:47]
	v_add_f64 v[60:61], v[12:13], -v[66:67]
	v_fma_f64 v[12:13], s[4:5], v[10:11], v[2:3]
	v_fmac_f64_e32 v[2:3], s[0:1], v[10:11]
	v_add_f64 v[10:11], v[4:5], v[20:21]
	v_add_f64 v[20:21], v[36:37], v[20:21]
	v_fmac_f64_e32 v[64:65], 0.5, v[40:41]
	v_fmac_f64_e32 v[4:5], -0.5, v[20:21]
	v_add_f64 v[18:19], v[18:19], -v[34:35]
	s_waitcnt vmcnt(0)
	v_add_f64 v[20:21], v[14:15], v[26:27]
	v_add_f64 v[38:39], v[44:45], v[58:59]
	;; [unrolled: 1-line block ×3, first 2 shown]
	v_add_f64 v[44:45], v[58:59], -v[44:45]
	v_add_f64 v[58:59], v[62:63], -v[64:65]
	v_fma_f64 v[62:63], s[0:1], v[18:19], v[4:5]
	v_fmac_f64_e32 v[4:5], s[4:5], v[18:19]
	v_add_f64 v[18:19], v[14:15], v[6:7]
	v_fmac_f64_e32 v[6:7], -0.5, v[20:21]
	v_add_f64 v[20:21], v[16:17], -v[28:29]
	v_add_f64 v[0:1], v[34:35], v[0:1]
	v_fma_f64 v[34:35], s[4:5], v[20:21], v[6:7]
	v_fmac_f64_e32 v[6:7], s[0:1], v[20:21]
	v_add_f64 v[20:21], v[16:17], v[8:9]
	v_add_f64 v[16:17], v[16:17], v[28:29]
	v_fmac_f64_e32 v[8:9], -0.5, v[16:17]
	v_add_f64 v[14:15], v[14:15], -v[26:27]
	v_add_f64 v[10:11], v[36:37], v[10:11]
	v_add_f64 v[36:37], v[28:29], v[20:21]
	v_fma_f64 v[20:21], s[0:1], v[14:15], v[8:9]
	v_fmac_f64_e32 v[8:9], s[4:5], v[14:15]
	v_add_f64 v[18:19], v[26:27], v[18:19]
	v_mul_f64 v[26:27], v[20:21], s[4:5]
	v_mul_f64 v[64:65], v[34:35], s[0:1]
	v_mul_f64 v[66:67], v[8:9], -0.5
	v_fmac_f64_e32 v[26:27], 0.5, v[34:35]
	v_fmac_f64_e32 v[64:65], 0.5, v[20:21]
	v_fmac_f64_e32 v[66:67], s[0:1], v[6:7]
	v_add_f64 v[14:15], v[0:1], v[18:19]
	v_add_f64 v[16:17], v[12:13], v[26:27]
	v_mul_f64 v[28:29], v[8:9], s[4:5]
	v_add_f64 v[8:9], v[0:1], -v[18:19]
	v_add_f64 v[20:21], v[62:63], v[64:65]
	v_add_f64 v[34:35], v[4:5], v[66:67]
	v_add_f64 v[0:1], v[12:13], -v[26:27]
	v_add_f64 v[62:63], v[62:63], -v[64:65]
	v_add_f64 v[64:65], v[4:5], -v[66:67]
	v_mul_u32_u24_e32 v4, 6, v54
	v_lshl_add_u32 v12, v57, 3, 0
	v_fmac_f64_e32 v[28:29], -0.5, v[6:7]
	v_lshl_add_u32 v13, v4, 3, v12
	v_mul_i32_i24_e32 v4, 6, v55
	s_movk_i32 s0, 0xffd8
	s_load_dwordx2 s[2:3], s[2:3], 0x0
	v_add_f64 v[6:7], v[2:3], v[28:29]
	v_add_f64 v[2:3], v[2:3], -v[28:29]
	ds_write_b128 v13, v[30:33]
	ds_write_b128 v13, v[22:25] offset:16
	ds_write_b128 v13, v[46:49] offset:32
	v_lshl_add_u32 v32, v4, 3, v12
	v_mad_i32_i24 v28, v54, s0, v13
	v_lshl_add_u32 v26, v54, 3, v12
	v_add_u32_e32 v27, 0x800, v28
	v_mad_i32_i24 v29, v55, s0, v32
	v_add_u32_e32 v31, 0x400, v28
	v_lshl_add_u32 v30, v56, 3, v12
	s_movk_i32 s0, 0xab
	v_add_f64 v[18:19], v[10:11], v[36:37]
	v_add_f64 v[36:37], v[10:11], -v[36:37]
	ds_write_b128 v32, v[14:17]
	ds_write_b128 v32, v[6:9] offset:16
	ds_write_b128 v32, v[0:3] offset:32
	s_waitcnt lgkmcnt(0)
	s_barrier
	ds_read_b64 v[8:9], v26
	ds_read2_b64 v[14:17], v28 offset0:96 offset1:128
	ds_read2_b64 v[22:25], v28 offset0:160 offset1:192
	ds_read2_b64 v[46:49], v27 offset0:32 offset1:64
	ds_read2_b64 v[0:3], v31 offset0:96 offset1:128
	ds_read_b64 v[4:5], v30
	ds_read_b64 v[6:7], v29
	ds_read_b64 v[10:11], v28 offset:2816
	s_waitcnt lgkmcnt(0)
	s_barrier
	ds_write_b128 v13, v[38:41]
	ds_write_b128 v13, v[42:45] offset:16
	ds_write_b128 v13, v[58:61] offset:32
	ds_write_b128 v32, v[18:21]
	ds_write_b128 v32, v[34:37] offset:16
	ds_write_b128 v32, v[62:65] offset:32
	v_mul_lo_u16_sdwa v13, v54, s0 dst_sel:DWORD dst_unused:UNUSED_PAD src0_sel:BYTE_0 src1_sel:DWORD
	v_lshrrev_b16_e32 v13, 10, v13
	v_mul_lo_u16_e32 v18, 6, v13
	v_sub_u16_e32 v57, v54, v18
	v_mul_lo_u16_e32 v18, 3, v57
	v_mov_b32_e32 v19, 4
	v_lshlrev_b32_sdwa v44, v19, v18 dst_sel:DWORD dst_unused:UNUSED_PAD src0_sel:DWORD src1_sel:BYTE_0
	s_waitcnt lgkmcnt(0)
	s_barrier
	global_load_dwordx4 v[18:21], v44, s[8:9]
	v_mul_lo_u16_sdwa v72, v55, s0 dst_sel:DWORD dst_unused:UNUSED_PAD src0_sel:BYTE_0 src1_sel:DWORD
	v_lshrrev_b16_e32 v73, 10, v72
	v_mul_lo_u16_e32 v32, 6, v73
	v_sub_u16_e32 v74, v55, v32
	v_mov_b32_e32 v75, 3
	v_mul_u32_u24_sdwa v32, v74, v75 dst_sel:DWORD dst_unused:UNUSED_PAD src0_sel:BYTE_0 src1_sel:DWORD
	v_lshlrev_b32_e32 v70, 4, v32
	global_load_dwordx4 v[32:35], v70, s[8:9]
	global_load_dwordx4 v[36:39], v44, s[8:9] offset:32
	ds_read2_b64 v[40:43], v28 offset0:96 offset1:128
	global_load_dwordx4 v[58:61], v70, s[8:9] offset:32
	global_load_dwordx4 v[62:65], v44, s[8:9] offset:16
	v_mul_lo_u16_sdwa v76, v56, s0 dst_sel:DWORD dst_unused:UNUSED_PAD src0_sel:BYTE_0 src1_sel:DWORD
	v_lshrrev_b16_e32 v77, 10, v76
	v_mul_lo_u16_e32 v13, 24, v13
	v_or_b32_e32 v13, v13, v57
	v_and_b32_e32 v13, 0xff, v13
	v_lshl_add_u32 v13, v13, 3, v12
	v_cmp_gt_u32_e64 s[0:1], 24, v54
	v_lshrrev_b16_e32 v76, 12, v76
	s_waitcnt vmcnt(4) lgkmcnt(0)
	v_mul_f64 v[44:45], v[40:41], v[20:21]
	v_fmac_f64_e32 v[44:45], v[14:15], v[18:19]
	v_mul_f64 v[14:15], v[14:15], v[20:21]
	v_fma_f64 v[40:41], v[40:41], v[18:19], -v[14:15]
	v_mul_lo_u16_e32 v14, 6, v77
	v_sub_u16_e32 v78, v56, v14
	v_mul_u32_u24_sdwa v14, v78, v75 dst_sel:DWORD dst_unused:UNUSED_PAD src0_sel:BYTE_0 src1_sel:DWORD
	v_lshlrev_b32_e32 v79, 4, v14
	global_load_dwordx4 v[18:21], v79, s[8:9]
	s_waitcnt vmcnt(4)
	v_mul_f64 v[66:67], v[42:43], v[34:35]
	v_mul_f64 v[14:15], v[16:17], v[34:35]
	v_fmac_f64_e32 v[66:67], v[16:17], v[32:33]
	v_fma_f64 v[42:43], v[42:43], v[32:33], -v[14:15]
	ds_read2_b64 v[14:17], v27 offset0:32 offset1:64
	s_waitcnt vmcnt(3)
	v_mul_f64 v[32:33], v[46:47], v[38:39]
	s_waitcnt lgkmcnt(0)
	v_mul_f64 v[68:69], v[14:15], v[38:39]
	v_fmac_f64_e32 v[68:69], v[46:47], v[36:37]
	v_fma_f64 v[46:47], v[14:15], v[36:37], -v[32:33]
	global_load_dwordx4 v[32:35], v70, s[8:9] offset:16
	s_waitcnt vmcnt(3)
	v_mul_f64 v[70:71], v[16:17], v[60:61]
	v_mul_f64 v[14:15], v[48:49], v[60:61]
	ds_read2_b64 v[36:39], v28 offset0:160 offset1:192
	v_fmac_f64_e32 v[70:71], v[48:49], v[58:59]
	v_fma_f64 v[48:49], v[16:17], v[58:59], -v[14:15]
	global_load_dwordx4 v[14:17], v79, s[8:9] offset:16
	v_add_f64 v[48:49], v[42:43], -v[48:49]
	s_waitcnt vmcnt(3) lgkmcnt(0)
	v_mul_f64 v[58:59], v[38:39], v[64:65]
	v_fmac_f64_e32 v[58:59], v[24:25], v[62:63]
	v_mul_f64 v[24:25], v[24:25], v[64:65]
	v_fma_f64 v[24:25], v[38:39], v[62:63], -v[24:25]
	s_waitcnt vmcnt(2)
	v_mul_f64 v[60:61], v[36:37], v[20:21]
	v_fmac_f64_e32 v[60:61], v[22:23], v[18:19]
	v_mul_f64 v[38:39], v[22:23], v[20:21]
	global_load_dwordx4 v[20:23], v79, s[8:9] offset:32
	v_fma_f64 v[62:63], v[36:37], v[18:19], -v[38:39]
	ds_read2_b64 v[36:39], v31 offset0:96 offset1:128
	s_waitcnt vmcnt(2) lgkmcnt(0)
	v_mul_f64 v[18:19], v[36:37], v[34:35]
	v_fmac_f64_e32 v[18:19], v[0:1], v[32:33]
	v_mul_f64 v[0:1], v[0:1], v[34:35]
	v_fma_f64 v[36:37], v[36:37], v[32:33], -v[0:1]
	s_waitcnt vmcnt(1)
	v_mul_f64 v[0:1], v[38:39], v[16:17]
	v_fmac_f64_e32 v[0:1], v[2:3], v[14:15]
	v_mul_f64 v[2:3], v[2:3], v[16:17]
	ds_read_b64 v[16:17], v28 offset:2816
	v_fma_f64 v[14:15], v[38:39], v[14:15], -v[2:3]
	ds_read_b64 v[38:39], v30
	ds_read_b64 v[64:65], v29
	;; [unrolled: 1-line block ×3, first 2 shown]
	s_waitcnt lgkmcnt(0)
	s_barrier
	v_add_f64 v[0:1], v[4:5], -v[0:1]
	v_fma_f64 v[4:5], v[4:5], 2.0, -v[0:1]
	v_add_f64 v[36:37], v[64:65], -v[36:37]
	v_add_f64 v[14:15], v[38:39], -v[14:15]
	v_fma_f64 v[38:39], v[38:39], 2.0, -v[14:15]
	s_waitcnt vmcnt(0)
	v_mul_f64 v[32:33], v[16:17], v[22:23]
	v_fmac_f64_e32 v[32:33], v[10:11], v[20:21]
	v_mul_f64 v[10:11], v[10:11], v[22:23]
	v_fma_f64 v[10:11], v[16:17], v[20:21], -v[10:11]
	v_add_f64 v[16:17], v[8:9], -v[58:59]
	v_add_f64 v[20:21], v[44:45], -v[68:69]
	v_fma_f64 v[8:9], v[8:9], 2.0, -v[16:17]
	v_add_f64 v[22:23], v[40:41], -v[46:47]
	v_fma_f64 v[34:35], v[44:45], 2.0, -v[20:21]
	v_add_f64 v[34:35], v[8:9], -v[34:35]
	v_add_f64 v[44:45], v[16:17], v[22:23]
	v_fma_f64 v[8:9], v[8:9], 2.0, -v[34:35]
	v_fma_f64 v[16:17], v[16:17], 2.0, -v[44:45]
	ds_write2_b64 v13, v[8:9], v[16:17] offset1:6
	ds_write2_b64 v13, v[34:35], v[44:45] offset0:12 offset1:18
	v_add_f64 v[8:9], v[2:3], -v[24:25]
	v_fma_f64 v[2:3], v[2:3], 2.0, -v[8:9]
	v_fma_f64 v[16:17], v[40:41], 2.0, -v[22:23]
	v_add_f64 v[16:17], v[2:3], -v[16:17]
	v_fma_f64 v[40:41], v[2:3], 2.0, -v[16:17]
	v_add_f64 v[44:45], v[8:9], -v[20:21]
	v_add_f64 v[2:3], v[6:7], -v[18:19]
	v_add_f64 v[58:59], v[66:67], -v[70:71]
	v_fma_f64 v[46:47], v[8:9], 2.0, -v[44:45]
	v_fma_f64 v[6:7], v[6:7], 2.0, -v[2:3]
	;; [unrolled: 1-line block ×3, first 2 shown]
	v_mul_u32_u24_e32 v20, 24, v73
	v_add_f64 v[8:9], v[6:7], -v[8:9]
	v_add_f64 v[18:19], v[2:3], v[48:49]
	v_or_b32_sdwa v20, v20, v74 dst_sel:DWORD dst_unused:UNUSED_PAD src0_sel:DWORD src1_sel:BYTE_0
	v_fma_f64 v[6:7], v[6:7], 2.0, -v[8:9]
	v_fma_f64 v[2:3], v[2:3], 2.0, -v[18:19]
	v_add_f64 v[66:67], v[60:61], -v[32:33]
	v_lshl_add_u32 v57, v20, 3, v12
	v_add_f64 v[68:69], v[62:63], -v[10:11]
	v_fma_f64 v[10:11], v[60:61], 2.0, -v[66:67]
	ds_write2_b64 v57, v[6:7], v[2:3] offset1:6
	v_mul_u32_u24_e32 v6, 24, v77
	v_add_f64 v[10:11], v[4:5], -v[10:11]
	v_add_f64 v[2:3], v[0:1], v[68:69]
	v_or_b32_sdwa v6, v6, v78 dst_sel:DWORD dst_unused:UNUSED_PAD src0_sel:DWORD src1_sel:BYTE_0
	v_fma_f64 v[4:5], v[4:5], 2.0, -v[10:11]
	v_fma_f64 v[0:1], v[0:1], 2.0, -v[2:3]
	v_lshl_add_u32 v60, v6, 3, v12
	ds_write2_b64 v57, v[8:9], v[18:19] offset0:12 offset1:18
	ds_write2_b64 v60, v[4:5], v[0:1] offset1:6
	ds_write2_b64 v60, v[10:11], v[2:3] offset0:12 offset1:18
	s_waitcnt lgkmcnt(0)
	s_barrier
	ds_read_b64 v[4:5], v26
	ds_read2_b64 v[8:11], v28 offset0:96 offset1:128
	ds_read2_b64 v[18:21], v28 offset0:160 offset1:192
	ds_read_b64 v[0:1], v30
	ds_read_b64 v[2:3], v29
	ds_read_b64 v[6:7], v28 offset:2816
	ds_read2_b64 v[22:25], v27 offset0:32 offset1:64
	ds_read2_b64 v[32:35], v31 offset0:96 offset1:128
	s_waitcnt lgkmcnt(0)
	s_barrier
	ds_write2_b64 v13, v[40:41], v[46:47] offset1:6
	v_fma_f64 v[40:41], v[42:43], 2.0, -v[48:49]
	v_fma_f64 v[42:43], v[62:63], 2.0, -v[68:69]
	;; [unrolled: 1-line block ×3, first 2 shown]
	v_add_f64 v[40:41], v[46:47], -v[40:41]
	v_add_f64 v[48:49], v[36:37], -v[58:59]
	;; [unrolled: 1-line block ×4, first 2 shown]
	v_fma_f64 v[46:47], v[46:47], 2.0, -v[40:41]
	v_fma_f64 v[36:37], v[36:37], 2.0, -v[48:49]
	;; [unrolled: 1-line block ×4, first 2 shown]
	ds_write2_b64 v13, v[16:17], v[44:45] offset0:12 offset1:18
	ds_write2_b64 v57, v[46:47], v[36:37] offset1:6
	ds_write2_b64 v57, v[40:41], v[48:49] offset0:12 offset1:18
	ds_write2_b64 v60, v[38:39], v[14:15] offset1:6
	ds_write2_b64 v60, v[42:43], v[58:59] offset0:12 offset1:18
	v_subrev_u32_e32 v13, 24, v54
	v_cndmask_b32_e64 v13, v13, v54, s[0:1]
	v_mul_i32_i24_e32 v16, 3, v13
	v_mov_b32_e32 v17, 0
	v_lshl_add_u64 v[14:15], v[16:17], 4, s[8:9]
	s_waitcnt lgkmcnt(0)
	s_barrier
	global_load_dwordx4 v[36:39], v[14:15], off offset:288
	v_lshrrev_b16_e32 v16, 12, v72
	v_mul_lo_u16_e32 v40, 24, v16
	v_sub_u16_e32 v57, v55, v40
	v_mul_u32_u24_sdwa v40, v57, v75 dst_sel:DWORD dst_unused:UNUSED_PAD src0_sel:BYTE_0 src1_sel:DWORD
	v_lshlrev_b32_e32 v74, 4, v40
	global_load_dwordx4 v[40:43], v74, s[8:9] offset:288
	global_load_dwordx4 v[44:47], v[14:15], off offset:320
	global_load_dwordx4 v[58:61], v74, s[8:9] offset:320
	global_load_dwordx4 v[62:65], v[14:15], off offset:304
	ds_read2_b64 v[66:69], v28 offset0:96 offset1:128
	v_cmp_lt_u32_e64 s[0:1], 23, v54
	s_waitcnt vmcnt(4) lgkmcnt(0)
	v_mul_f64 v[14:15], v[66:67], v[38:39]
	v_fmac_f64_e32 v[14:15], v[8:9], v[36:37]
	v_mul_f64 v[8:9], v[8:9], v[38:39]
	v_fma_f64 v[48:49], v[66:67], v[36:37], -v[8:9]
	v_mul_lo_u16_e32 v36, 24, v76
	v_sub_u16_e32 v77, v56, v36
	v_mul_u32_u24_sdwa v36, v77, v75 dst_sel:DWORD dst_unused:UNUSED_PAD src0_sel:BYTE_0 src1_sel:DWORD
	v_lshlrev_b32_e32 v78, 4, v36
	s_waitcnt vmcnt(3)
	v_mul_f64 v[66:67], v[68:69], v[42:43]
	global_load_dwordx4 v[36:39], v78, s[8:9] offset:288
	v_fmac_f64_e32 v[66:67], v[10:11], v[40:41]
	v_mul_f64 v[42:43], v[10:11], v[42:43]
	ds_read2_b64 v[8:11], v27 offset0:32 offset1:64
	v_fma_f64 v[68:69], v[68:69], v[40:41], -v[42:43]
	global_load_dwordx4 v[40:43], v74, s[8:9] offset:304
	s_waitcnt vmcnt(4) lgkmcnt(0)
	v_mul_f64 v[70:71], v[8:9], v[46:47]
	v_fmac_f64_e32 v[70:71], v[22:23], v[44:45]
	v_mul_f64 v[22:23], v[22:23], v[46:47]
	s_waitcnt vmcnt(3)
	v_mul_f64 v[74:75], v[10:11], v[60:61]
	v_fma_f64 v[72:73], v[8:9], v[44:45], -v[22:23]
	v_fmac_f64_e32 v[74:75], v[24:25], v[58:59]
	v_mul_f64 v[8:9], v[24:25], v[60:61]
	global_load_dwordx4 v[22:25], v78, s[8:9] offset:304
	global_load_dwordx4 v[44:47], v78, s[8:9] offset:320
	v_fma_f64 v[58:59], v[10:11], v[58:59], -v[8:9]
	ds_read2_b64 v[8:11], v28 offset0:160 offset1:192
	v_add_f64 v[58:59], v[68:69], -v[58:59]
	s_waitcnt vmcnt(4) lgkmcnt(0)
	v_mul_f64 v[60:61], v[10:11], v[64:65]
	v_fmac_f64_e32 v[60:61], v[20:21], v[62:63]
	v_mul_f64 v[20:21], v[20:21], v[64:65]
	v_fma_f64 v[20:21], v[10:11], v[62:63], -v[20:21]
	s_waitcnt vmcnt(3)
	v_mul_f64 v[62:63], v[8:9], v[38:39]
	v_mul_f64 v[10:11], v[18:19], v[38:39]
	v_fmac_f64_e32 v[62:63], v[18:19], v[36:37]
	v_fma_f64 v[36:37], v[8:9], v[36:37], -v[10:11]
	ds_read2_b64 v[8:11], v31 offset0:96 offset1:128
	s_waitcnt vmcnt(2) lgkmcnt(0)
	v_mul_f64 v[18:19], v[8:9], v[42:43]
	v_fmac_f64_e32 v[18:19], v[32:33], v[40:41]
	v_mul_f64 v[32:33], v[32:33], v[42:43]
	v_fma_f64 v[32:33], v[8:9], v[40:41], -v[32:33]
	s_waitcnt vmcnt(1)
	v_mul_f64 v[8:9], v[10:11], v[24:25]
	v_fmac_f64_e32 v[8:9], v[34:35], v[22:23]
	v_mul_f64 v[24:25], v[34:35], v[24:25]
	ds_read_b64 v[34:35], v28 offset:2816
	v_fma_f64 v[38:39], v[10:11], v[22:23], -v[24:25]
	v_mov_b32_e32 v24, 0x60
	ds_read_b64 v[40:41], v30
	ds_read_b64 v[42:43], v29
	;; [unrolled: 1-line block ×3, first 2 shown]
	v_cndmask_b32_e64 v24, 0, v24, s[0:1]
	s_waitcnt vmcnt(0) lgkmcnt(3)
	v_mul_f64 v[22:23], v[34:35], v[46:47]
	v_fmac_f64_e32 v[22:23], v[6:7], v[44:45]
	v_mul_f64 v[6:7], v[6:7], v[46:47]
	v_fma_f64 v[6:7], v[34:35], v[44:45], -v[6:7]
	v_or_b32_e32 v13, v24, v13
	v_add_f64 v[24:25], v[4:5], -v[60:61]
	v_add_f64 v[34:35], v[14:15], -v[70:71]
	v_fma_f64 v[4:5], v[4:5], 2.0, -v[24:25]
	v_add_f64 v[44:45], v[48:49], -v[72:73]
	v_fma_f64 v[14:15], v[14:15], 2.0, -v[34:35]
	v_add_f64 v[14:15], v[4:5], -v[14:15]
	v_add_f64 v[46:47], v[24:25], v[44:45]
	v_fma_f64 v[4:5], v[4:5], 2.0, -v[14:15]
	v_fma_f64 v[24:25], v[24:25], 2.0, -v[46:47]
	v_lshl_add_u32 v70, v13, 3, v12
	s_waitcnt lgkmcnt(0)
	s_barrier
	ds_write2_b64 v70, v[4:5], v[24:25] offset1:24
	ds_write2_b64 v70, v[14:15], v[46:47] offset0:48 offset1:72
	v_add_f64 v[4:5], v[10:11], -v[20:21]
	v_fma_f64 v[10:11], v[10:11], 2.0, -v[4:5]
	v_fma_f64 v[14:15], v[48:49], 2.0, -v[44:45]
	v_add_f64 v[34:35], v[4:5], -v[34:35]
	v_add_f64 v[44:45], v[10:11], -v[14:15]
	v_fma_f64 v[48:49], v[4:5], 2.0, -v[34:35]
	v_add_f64 v[4:5], v[2:3], -v[18:19]
	v_add_f64 v[60:61], v[66:67], -v[74:75]
	v_fma_f64 v[46:47], v[10:11], 2.0, -v[44:45]
	v_fma_f64 v[2:3], v[2:3], 2.0, -v[4:5]
	;; [unrolled: 1-line block ×3, first 2 shown]
	v_mul_u32_u24_e32 v13, 0x60, v16
	v_add_f64 v[10:11], v[2:3], -v[10:11]
	v_add_f64 v[14:15], v[4:5], v[58:59]
	v_or_b32_sdwa v13, v13, v57 dst_sel:DWORD dst_unused:UNUSED_PAD src0_sel:DWORD src1_sel:BYTE_0
	v_fma_f64 v[2:3], v[2:3], 2.0, -v[10:11]
	v_fma_f64 v[4:5], v[4:5], 2.0, -v[14:15]
	v_add_f64 v[8:9], v[0:1], -v[8:9]
	v_add_f64 v[64:65], v[62:63], -v[22:23]
	v_lshl_add_u32 v16, v13, 3, v12
	v_fma_f64 v[0:1], v[0:1], 2.0, -v[8:9]
	v_add_f64 v[66:67], v[36:37], -v[6:7]
	v_fma_f64 v[6:7], v[62:63], 2.0, -v[64:65]
	ds_write2_b64 v16, v[2:3], v[4:5] offset1:24
	ds_write2_b64 v16, v[10:11], v[14:15] offset0:48 offset1:72
	v_mul_u32_u24_e32 v2, 0x60, v76
	v_add_f64 v[6:7], v[0:1], -v[6:7]
	v_add_f64 v[18:19], v[8:9], v[66:67]
	v_or_b32_sdwa v2, v2, v77 dst_sel:DWORD dst_unused:UNUSED_PAD src0_sel:DWORD src1_sel:BYTE_0
	v_fma_f64 v[0:1], v[0:1], 2.0, -v[6:7]
	v_fma_f64 v[8:9], v[8:9], 2.0, -v[18:19]
	v_lshl_add_u32 v57, v2, 3, v12
	ds_write2_b64 v57, v[0:1], v[8:9] offset1:24
	ds_write2_b64 v57, v[6:7], v[18:19] offset0:48 offset1:72
	s_waitcnt lgkmcnt(0)
	s_barrier
	ds_read_b64 v[18:19], v26
	ds_read2_b64 v[4:7], v28 offset0:96 offset1:128
	ds_read2_b64 v[12:15], v28 offset0:160 offset1:192
	;; [unrolled: 1-line block ×3, first 2 shown]
	ds_read_b64 v[22:23], v30
	ds_read_b64 v[20:21], v29
	ds_read_b64 v[24:25], v28 offset:2816
	ds_read2_b64 v[8:11], v31 offset0:96 offset1:128
	v_add_f64 v[32:33], v[42:43], -v[32:33]
	v_add_f64 v[38:39], v[40:41], -v[38:39]
	s_waitcnt lgkmcnt(0)
	s_barrier
	ds_write2_b64 v70, v[46:47], v[48:49] offset1:24
	v_fma_f64 v[46:47], v[68:69], 2.0, -v[58:59]
	v_fma_f64 v[42:43], v[42:43], 2.0, -v[32:33]
	;; [unrolled: 1-line block ×4, first 2 shown]
	s_movk_i32 s0, 0x180
	v_add_f64 v[46:47], v[42:43], -v[46:47]
	v_add_f64 v[48:49], v[32:33], -v[60:61]
	;; [unrolled: 1-line block ×4, first 2 shown]
	s_movk_i32 s1, 0x60
	v_fma_f64 v[42:43], v[42:43], 2.0, -v[46:47]
	v_fma_f64 v[32:33], v[32:33], 2.0, -v[48:49]
	;; [unrolled: 1-line block ×4, first 2 shown]
	ds_write2_b64 v70, v[44:45], v[34:35] offset0:48 offset1:72
	ds_write2_b64 v16, v[42:43], v[32:33] offset1:24
	ds_write2_b64 v16, v[46:47], v[48:49] offset0:48 offset1:72
	ds_write2_b64 v57, v[40:41], v[38:39] offset1:24
	ds_write2_b64 v57, v[36:37], v[58:59] offset0:48 offset1:72
	s_waitcnt lgkmcnt(0)
	s_barrier
	s_and_saveexec_b64 s[4:5], vcc
	s_cbranch_execz .LBB0_15
; %bb.14:
	v_mul_i32_i24_e32 v16, 3, v56
	v_lshl_add_u64 v[48:49], v[16:17], 4, s[8:9]
	global_load_dwordx4 v[32:35], v[48:49], off offset:1440
	v_mul_u32_u24_e32 v16, 3, v54
	v_lshlrev_b32_e32 v74, 4, v16
	global_load_dwordx4 v[36:39], v74, s[8:9] offset:1456
	global_load_dwordx4 v[40:43], v[48:49], off offset:1456
	v_mul_i32_i24_e32 v16, 3, v55
	v_lshl_add_u64 v[68:69], v[16:17], 4, s[8:9]
	global_load_dwordx4 v[44:47], v[68:69], off offset:1456
	global_load_dwordx4 v[56:59], v[48:49], off offset:1472
	;; [unrolled: 1-line block ×4, first 2 shown]
	ds_read2_b64 v[68:71], v28 offset0:160 offset1:192
	v_mul_lo_u32 v16, s3, v52
	v_mul_lo_u32 v55, s2, v53
	v_mad_u64_u32 v[52:53], s[2:3], s2, v52, 0
	s_mov_b32 s2, 0xaaaaaaab
	v_add3_u32 v53, v53, v55, v16
	v_mul_hi_u32 v16, v54, s2
	v_lshrrev_b32_e32 v16, 6, v16
	v_mul_lo_u32 v16, v16, s1
	v_sub_u32_e32 v16, v54, v16
	v_lshlrev_b32_e32 v16, 4, v16
	s_movk_i32 s3, 0x1000
	s_waitcnt vmcnt(6)
	v_mul_f64 v[48:49], v[12:13], v[32:33]
	v_mul_f64 v[12:13], v[12:13], v[34:35]
	s_waitcnt lgkmcnt(0)
	v_fmac_f64_e32 v[48:49], v[68:69], v[34:35]
	v_fma_f64 v[68:69], v[68:69], v[32:33], -v[12:13]
	s_waitcnt vmcnt(5)
	v_mul_f64 v[12:13], v[14:15], v[38:39]
	v_fma_f64 v[72:73], v[70:71], v[36:37], -v[12:13]
	v_mul_f64 v[70:71], v[70:71], v[38:39]
	global_load_dwordx4 v[32:35], v74, s[8:9] offset:1440
	v_fmac_f64_e32 v[70:71], v[14:15], v[36:37]
	global_load_dwordx4 v[12:15], v74, s[8:9] offset:1472
	ds_read2_b64 v[36:39], v31 offset0:96 offset1:128
	s_waitcnt vmcnt(6)
	v_mul_f64 v[74:75], v[10:11], v[42:43]
	s_waitcnt lgkmcnt(0)
	v_mul_f64 v[42:43], v[38:39], v[42:43]
	v_fmac_f64_e32 v[42:43], v[10:11], v[40:41]
	s_waitcnt vmcnt(5)
	v_mul_f64 v[10:11], v[8:9], v[46:47]
	v_fma_f64 v[38:39], v[38:39], v[40:41], -v[74:75]
	v_fma_f64 v[40:41], v[36:37], v[44:45], -v[10:11]
	v_mul_f64 v[36:37], v[36:37], v[46:47]
	v_fmac_f64_e32 v[36:37], v[8:9], v[44:45]
	ds_read_b64 v[30:31], v30
	ds_read_b64 v[74:75], v29
	ds_read_b64 v[44:45], v28 offset:2816
	ds_read2_b64 v[8:11], v28 offset0:96 offset1:128
	ds_read_b64 v[76:77], v26
	s_waitcnt vmcnt(4)
	v_mul_f64 v[28:29], v[24:25], v[56:57]
	v_mul_f64 v[24:25], v[24:25], v[58:59]
	s_waitcnt lgkmcnt(2)
	v_fmac_f64_e32 v[28:29], v[44:45], v[58:59]
	v_fma_f64 v[44:45], v[44:45], v[56:57], -v[24:25]
	ds_read2_b64 v[24:27], v27 offset0:32 offset1:64
	s_waitcnt vmcnt(3)
	v_mul_f64 v[56:57], v[6:7], v[60:61]
	v_mul_f64 v[6:7], v[6:7], v[62:63]
	s_waitcnt lgkmcnt(2)
	v_fmac_f64_e32 v[56:57], v[10:11], v[62:63]
	v_fma_f64 v[6:7], v[10:11], v[60:61], -v[6:7]
	s_waitcnt vmcnt(2)
	v_mul_f64 v[10:11], v[2:3], v[64:65]
	v_mul_f64 v[2:3], v[2:3], v[66:67]
	v_add_f64 v[38:39], v[30:31], -v[38:39]
	v_add_f64 v[46:47], v[48:49], -v[28:29]
	;; [unrolled: 1-line block ×4, first 2 shown]
	s_waitcnt lgkmcnt(0)
	v_fma_f64 v[2:3], v[26:27], v[64:65], -v[2:3]
	v_fmac_f64_e32 v[10:11], v[26:27], v[66:67]
	v_add_f64 v[26:27], v[42:43], v[44:45]
	v_fma_f64 v[30:31], v[30:31], 2.0, -v[38:39]
	v_fma_f64 v[44:45], v[68:69], 2.0, -v[44:45]
	;; [unrolled: 1-line block ×4, first 2 shown]
	v_add_f64 v[48:49], v[74:75], -v[40:41]
	v_add_f64 v[60:61], v[20:21], -v[36:37]
	;; [unrolled: 1-line block ×3, first 2 shown]
	v_fma_f64 v[36:37], v[42:43], 2.0, -v[26:27]
	v_add_f64 v[42:43], v[30:31], -v[44:45]
	v_add_f64 v[44:45], v[60:61], v[2:3]
	v_fma_f64 v[64:65], v[74:75], 2.0, -v[48:49]
	v_fma_f64 v[2:3], v[6:7], 2.0, -v[2:3]
	v_add_f64 v[10:11], v[56:57], -v[10:11]
	v_add_f64 v[40:41], v[58:59], -v[22:23]
	v_fma_f64 v[22:23], v[30:31], 2.0, -v[42:43]
	v_add_f64 v[62:63], v[64:65], -v[2:3]
	v_add_f64 v[28:29], v[38:39], -v[46:47]
	v_add_f64 v[46:47], v[48:49], -v[10:11]
	v_fma_f64 v[6:7], v[20:21], 2.0, -v[60:61]
	v_fma_f64 v[20:21], v[58:59], 2.0, -v[40:41]
	;; [unrolled: 1-line block ×4, first 2 shown]
	v_add_f64 v[72:73], v[76:77], -v[72:73]
	v_fma_f64 v[56:57], v[60:61], 2.0, -v[44:45]
	v_add_f64 v[60:61], v[6:7], -v[10:11]
	v_fma_f64 v[66:67], v[64:65], 2.0, -v[62:63]
	v_fma_f64 v[64:65], v[6:7], 2.0, -v[60:61]
	;; [unrolled: 1-line block ×3, first 2 shown]
	s_waitcnt vmcnt(1)
	v_mul_f64 v[30:31], v[4:5], v[32:33]
	v_fmac_f64_e32 v[30:31], v[8:9], v[34:35]
	s_waitcnt vmcnt(0)
	v_mul_f64 v[2:3], v[0:1], v[12:13]
	v_fmac_f64_e32 v[2:3], v[24:25], v[14:15]
	v_add_f64 v[48:49], v[30:31], -v[2:3]
	v_mul_f64 v[2:3], v[4:5], v[34:35]
	v_mul_f64 v[0:1], v[0:1], v[14:15]
	v_fma_f64 v[8:9], v[8:9], v[32:33], -v[2:3]
	v_fma_f64 v[0:1], v[24:25], v[12:13], -v[0:1]
	v_add_f64 v[10:11], v[8:9], -v[0:1]
	v_add_f64 v[32:33], v[18:19], -v[70:71]
	v_fma_f64 v[12:13], v[76:77], 2.0, -v[72:73]
	v_fma_f64 v[8:9], v[8:9], 2.0, -v[10:11]
	v_add_f64 v[0:1], v[32:33], v[10:11]
	v_add_f64 v[10:11], v[12:13], -v[8:9]
	v_fma_f64 v[14:15], v[12:13], 2.0, -v[10:11]
	v_fma_f64 v[12:13], v[18:19], 2.0, -v[32:33]
	;; [unrolled: 1-line block ×3, first 2 shown]
	v_lshl_add_u64 v[18:19], v[52:53], 4, s[6:7]
	v_add_f64 v[8:9], v[12:13], -v[8:9]
	v_lshl_add_u64 v[18:19], v[50:51], 4, v[18:19]
	v_add_f64 v[2:3], v[72:73], -v[48:49]
	v_fma_f64 v[4:5], v[32:33], 2.0, -v[0:1]
	v_fma_f64 v[12:13], v[12:13], 2.0, -v[8:9]
	v_lshl_add_u64 v[24:25], v[18:19], 0, v[16:17]
	v_fma_f64 v[6:7], v[72:73], 2.0, -v[2:3]
	global_store_dwordx4 v[24:25], v[12:15], off
	global_store_dwordx4 v[24:25], v[4:7], off offset:1536
	global_store_dwordx4 v[24:25], v[8:11], off offset:3072
	s_nop 0
	v_add_co_u32_e32 v4, vcc, s3, v24
	s_nop 1
	v_addc_co_u32_e32 v5, vcc, 0, v25, vcc
	global_store_dwordx4 v[4:5], v[0:3], off offset:512
	s_nop 1
	v_add_u32_e32 v0, 32, v54
	v_mul_hi_u32 v1, v0, s2
	v_lshrrev_b32_e32 v1, 6, v1
	v_mul_lo_u32 v2, v1, s0
	v_mul_lo_u32 v1, v1, s1
	v_sub_u32_e32 v0, v0, v1
	v_or_b32_e32 v16, v2, v0
	v_lshl_add_u64 v[0:1], v[16:17], 4, v[18:19]
	global_store_dwordx4 v[0:1], v[64:67], off
	v_add_u32_e32 v0, 0x60, v16
	v_mov_b32_e32 v1, v17
	v_lshl_add_u64 v[0:1], v[0:1], 4, v[18:19]
	global_store_dwordx4 v[0:1], v[56:59], off
	v_add_u32_e32 v0, 0xc0, v16
	v_mov_b32_e32 v1, v17
	v_lshl_add_u64 v[0:1], v[0:1], 4, v[18:19]
	v_add_u32_e32 v16, 0x120, v16
	global_store_dwordx4 v[0:1], v[60:63], off
	v_lshl_add_u64 v[0:1], v[16:17], 4, v[18:19]
	global_store_dwordx4 v[0:1], v[44:47], off
	v_add_u32_e32 v0, 64, v54
	v_mul_hi_u32 v1, v0, s2
	v_lshrrev_b32_e32 v1, 6, v1
	v_mul_lo_u32 v2, v1, s0
	v_mul_lo_u32 v1, v1, s1
	v_sub_u32_e32 v0, v0, v1
	v_or_b32_e32 v16, v2, v0
	v_lshl_add_u64 v[0:1], v[16:17], 4, v[18:19]
	global_store_dwordx4 v[0:1], v[20:23], off
	v_add_u32_e32 v0, 0x60, v16
	v_mov_b32_e32 v1, v17
	v_lshl_add_u64 v[0:1], v[0:1], 4, v[18:19]
	global_store_dwordx4 v[0:1], v[36:39], off
	v_add_u32_e32 v0, 0xc0, v16
	v_mov_b32_e32 v1, v17
	v_lshl_add_u64 v[0:1], v[0:1], 4, v[18:19]
	v_add_u32_e32 v16, 0x120, v16
	global_store_dwordx4 v[0:1], v[40:43], off
	v_lshl_add_u64 v[0:1], v[16:17], 4, v[18:19]
	global_store_dwordx4 v[0:1], v[26:29], off
.LBB0_15:
	s_endpgm
	.section	.rodata,"a",@progbits
	.p2align	6, 0x0
	.amdhsa_kernel fft_rtc_back_len384_factors_6_4_4_4_wgs_128_tpt_32_halfLds_dp_op_CI_CI_unitstride_sbrr_dirReg
		.amdhsa_group_segment_fixed_size 0
		.amdhsa_private_segment_fixed_size 0
		.amdhsa_kernarg_size 104
		.amdhsa_user_sgpr_count 2
		.amdhsa_user_sgpr_dispatch_ptr 0
		.amdhsa_user_sgpr_queue_ptr 0
		.amdhsa_user_sgpr_kernarg_segment_ptr 1
		.amdhsa_user_sgpr_dispatch_id 0
		.amdhsa_user_sgpr_kernarg_preload_length 0
		.amdhsa_user_sgpr_kernarg_preload_offset 0
		.amdhsa_user_sgpr_private_segment_size 0
		.amdhsa_uses_dynamic_stack 0
		.amdhsa_enable_private_segment 0
		.amdhsa_system_sgpr_workgroup_id_x 1
		.amdhsa_system_sgpr_workgroup_id_y 0
		.amdhsa_system_sgpr_workgroup_id_z 0
		.amdhsa_system_sgpr_workgroup_info 0
		.amdhsa_system_vgpr_workitem_id 0
		.amdhsa_next_free_vgpr 80
		.amdhsa_next_free_sgpr 28
		.amdhsa_accum_offset 80
		.amdhsa_reserve_vcc 1
		.amdhsa_float_round_mode_32 0
		.amdhsa_float_round_mode_16_64 0
		.amdhsa_float_denorm_mode_32 3
		.amdhsa_float_denorm_mode_16_64 3
		.amdhsa_dx10_clamp 1
		.amdhsa_ieee_mode 1
		.amdhsa_fp16_overflow 0
		.amdhsa_tg_split 0
		.amdhsa_exception_fp_ieee_invalid_op 0
		.amdhsa_exception_fp_denorm_src 0
		.amdhsa_exception_fp_ieee_div_zero 0
		.amdhsa_exception_fp_ieee_overflow 0
		.amdhsa_exception_fp_ieee_underflow 0
		.amdhsa_exception_fp_ieee_inexact 0
		.amdhsa_exception_int_div_zero 0
	.end_amdhsa_kernel
	.text
.Lfunc_end0:
	.size	fft_rtc_back_len384_factors_6_4_4_4_wgs_128_tpt_32_halfLds_dp_op_CI_CI_unitstride_sbrr_dirReg, .Lfunc_end0-fft_rtc_back_len384_factors_6_4_4_4_wgs_128_tpt_32_halfLds_dp_op_CI_CI_unitstride_sbrr_dirReg
                                        ; -- End function
	.section	.AMDGPU.csdata,"",@progbits
; Kernel info:
; codeLenInByte = 6132
; NumSgprs: 34
; NumVgprs: 80
; NumAgprs: 0
; TotalNumVgprs: 80
; ScratchSize: 0
; MemoryBound: 1
; FloatMode: 240
; IeeeMode: 1
; LDSByteSize: 0 bytes/workgroup (compile time only)
; SGPRBlocks: 4
; VGPRBlocks: 9
; NumSGPRsForWavesPerEU: 34
; NumVGPRsForWavesPerEU: 80
; AccumOffset: 80
; Occupancy: 6
; WaveLimiterHint : 1
; COMPUTE_PGM_RSRC2:SCRATCH_EN: 0
; COMPUTE_PGM_RSRC2:USER_SGPR: 2
; COMPUTE_PGM_RSRC2:TRAP_HANDLER: 0
; COMPUTE_PGM_RSRC2:TGID_X_EN: 1
; COMPUTE_PGM_RSRC2:TGID_Y_EN: 0
; COMPUTE_PGM_RSRC2:TGID_Z_EN: 0
; COMPUTE_PGM_RSRC2:TIDIG_COMP_CNT: 0
; COMPUTE_PGM_RSRC3_GFX90A:ACCUM_OFFSET: 19
; COMPUTE_PGM_RSRC3_GFX90A:TG_SPLIT: 0
	.text
	.p2alignl 6, 3212836864
	.fill 256, 4, 3212836864
	.type	__hip_cuid_1917a3e20ffb9b42,@object ; @__hip_cuid_1917a3e20ffb9b42
	.section	.bss,"aw",@nobits
	.globl	__hip_cuid_1917a3e20ffb9b42
__hip_cuid_1917a3e20ffb9b42:
	.byte	0                               ; 0x0
	.size	__hip_cuid_1917a3e20ffb9b42, 1

	.ident	"AMD clang version 19.0.0git (https://github.com/RadeonOpenCompute/llvm-project roc-6.4.0 25133 c7fe45cf4b819c5991fe208aaa96edf142730f1d)"
	.section	".note.GNU-stack","",@progbits
	.addrsig
	.addrsig_sym __hip_cuid_1917a3e20ffb9b42
	.amdgpu_metadata
---
amdhsa.kernels:
  - .agpr_count:     0
    .args:
      - .actual_access:  read_only
        .address_space:  global
        .offset:         0
        .size:           8
        .value_kind:     global_buffer
      - .offset:         8
        .size:           8
        .value_kind:     by_value
      - .actual_access:  read_only
        .address_space:  global
        .offset:         16
        .size:           8
        .value_kind:     global_buffer
      - .actual_access:  read_only
        .address_space:  global
        .offset:         24
        .size:           8
        .value_kind:     global_buffer
      - .actual_access:  read_only
        .address_space:  global
        .offset:         32
        .size:           8
        .value_kind:     global_buffer
      - .offset:         40
        .size:           8
        .value_kind:     by_value
      - .actual_access:  read_only
        .address_space:  global
        .offset:         48
        .size:           8
        .value_kind:     global_buffer
      - .actual_access:  read_only
        .address_space:  global
        .offset:         56
        .size:           8
        .value_kind:     global_buffer
      - .offset:         64
        .size:           4
        .value_kind:     by_value
      - .actual_access:  read_only
        .address_space:  global
        .offset:         72
        .size:           8
        .value_kind:     global_buffer
      - .actual_access:  read_only
        .address_space:  global
        .offset:         80
        .size:           8
        .value_kind:     global_buffer
      - .actual_access:  read_only
        .address_space:  global
        .offset:         88
        .size:           8
        .value_kind:     global_buffer
      - .actual_access:  write_only
        .address_space:  global
        .offset:         96
        .size:           8
        .value_kind:     global_buffer
    .group_segment_fixed_size: 0
    .kernarg_segment_align: 8
    .kernarg_segment_size: 104
    .language:       OpenCL C
    .language_version:
      - 2
      - 0
    .max_flat_workgroup_size: 128
    .name:           fft_rtc_back_len384_factors_6_4_4_4_wgs_128_tpt_32_halfLds_dp_op_CI_CI_unitstride_sbrr_dirReg
    .private_segment_fixed_size: 0
    .sgpr_count:     34
    .sgpr_spill_count: 0
    .symbol:         fft_rtc_back_len384_factors_6_4_4_4_wgs_128_tpt_32_halfLds_dp_op_CI_CI_unitstride_sbrr_dirReg.kd
    .uniform_work_group_size: 1
    .uses_dynamic_stack: false
    .vgpr_count:     80
    .vgpr_spill_count: 0
    .wavefront_size: 64
amdhsa.target:   amdgcn-amd-amdhsa--gfx950
amdhsa.version:
  - 1
  - 2
...

	.end_amdgpu_metadata
